;; amdgpu-corpus repo=ROCm/rocFFT kind=compiled arch=gfx1030 opt=O3
	.text
	.amdgcn_target "amdgcn-amd-amdhsa--gfx1030"
	.amdhsa_code_object_version 6
	.protected	fft_rtc_fwd_len1280_factors_16_5_16_wgs_80_tpt_80_halfLds_dp_ip_CI_sbrr_dirReg ; -- Begin function fft_rtc_fwd_len1280_factors_16_5_16_wgs_80_tpt_80_halfLds_dp_ip_CI_sbrr_dirReg
	.globl	fft_rtc_fwd_len1280_factors_16_5_16_wgs_80_tpt_80_halfLds_dp_ip_CI_sbrr_dirReg
	.p2align	8
	.type	fft_rtc_fwd_len1280_factors_16_5_16_wgs_80_tpt_80_halfLds_dp_ip_CI_sbrr_dirReg,@function
fft_rtc_fwd_len1280_factors_16_5_16_wgs_80_tpt_80_halfLds_dp_ip_CI_sbrr_dirReg: ; @fft_rtc_fwd_len1280_factors_16_5_16_wgs_80_tpt_80_halfLds_dp_ip_CI_sbrr_dirReg
; %bb.0:
	s_clause 0x2
	s_load_dwordx2 s[14:15], s[4:5], 0x18
	s_load_dwordx4 s[8:11], s[4:5], 0x0
	s_load_dwordx2 s[12:13], s[4:5], 0x50
	v_mul_u32_u24_e32 v1, 0x334, v0
	v_mov_b32_e32 v3, 0
	v_add_nc_u32_sdwa v5, s6, v1 dst_sel:DWORD dst_unused:UNUSED_PAD src0_sel:DWORD src1_sel:WORD_1
	v_mov_b32_e32 v1, 0
	v_mov_b32_e32 v6, v3
	v_mov_b32_e32 v2, 0
	s_waitcnt lgkmcnt(0)
	s_load_dwordx2 s[2:3], s[14:15], 0x0
	v_cmp_lt_u64_e64 s0, s[10:11], 2
	s_and_b32 vcc_lo, exec_lo, s0
	s_cbranch_vccnz .LBB0_8
; %bb.1:
	s_load_dwordx2 s[0:1], s[4:5], 0x10
	v_mov_b32_e32 v1, 0
	s_add_u32 s6, s14, 8
	v_mov_b32_e32 v2, 0
	s_addc_u32 s7, s15, 0
	s_mov_b64 s[18:19], 1
	s_waitcnt lgkmcnt(0)
	s_add_u32 s16, s0, 8
	s_addc_u32 s17, s1, 0
.LBB0_2:                                ; =>This Inner Loop Header: Depth=1
	s_load_dwordx2 s[20:21], s[16:17], 0x0
                                        ; implicit-def: $vgpr7_vgpr8
	s_mov_b32 s0, exec_lo
	s_waitcnt lgkmcnt(0)
	v_or_b32_e32 v4, s21, v6
	v_cmpx_ne_u64_e32 0, v[3:4]
	s_xor_b32 s1, exec_lo, s0
	s_cbranch_execz .LBB0_4
; %bb.3:                                ;   in Loop: Header=BB0_2 Depth=1
	v_cvt_f32_u32_e32 v4, s20
	v_cvt_f32_u32_e32 v7, s21
	s_sub_u32 s0, 0, s20
	s_subb_u32 s22, 0, s21
	v_fmac_f32_e32 v4, 0x4f800000, v7
	v_rcp_f32_e32 v4, v4
	v_mul_f32_e32 v4, 0x5f7ffffc, v4
	v_mul_f32_e32 v7, 0x2f800000, v4
	v_trunc_f32_e32 v7, v7
	v_fmac_f32_e32 v4, 0xcf800000, v7
	v_cvt_u32_f32_e32 v7, v7
	v_cvt_u32_f32_e32 v4, v4
	v_mul_lo_u32 v8, s0, v7
	v_mul_hi_u32 v9, s0, v4
	v_mul_lo_u32 v10, s22, v4
	v_add_nc_u32_e32 v8, v9, v8
	v_mul_lo_u32 v9, s0, v4
	v_add_nc_u32_e32 v8, v8, v10
	v_mul_hi_u32 v10, v4, v9
	v_mul_lo_u32 v11, v4, v8
	v_mul_hi_u32 v12, v4, v8
	v_mul_hi_u32 v13, v7, v9
	v_mul_lo_u32 v9, v7, v9
	v_mul_hi_u32 v14, v7, v8
	v_mul_lo_u32 v8, v7, v8
	v_add_co_u32 v10, vcc_lo, v10, v11
	v_add_co_ci_u32_e32 v11, vcc_lo, 0, v12, vcc_lo
	v_add_co_u32 v9, vcc_lo, v10, v9
	v_add_co_ci_u32_e32 v9, vcc_lo, v11, v13, vcc_lo
	v_add_co_ci_u32_e32 v10, vcc_lo, 0, v14, vcc_lo
	v_add_co_u32 v8, vcc_lo, v9, v8
	v_add_co_ci_u32_e32 v9, vcc_lo, 0, v10, vcc_lo
	v_add_co_u32 v4, vcc_lo, v4, v8
	v_add_co_ci_u32_e32 v7, vcc_lo, v7, v9, vcc_lo
	v_mul_hi_u32 v8, s0, v4
	v_mul_lo_u32 v10, s22, v4
	v_mul_lo_u32 v9, s0, v7
	v_add_nc_u32_e32 v8, v8, v9
	v_mul_lo_u32 v9, s0, v4
	v_add_nc_u32_e32 v8, v8, v10
	v_mul_hi_u32 v10, v4, v9
	v_mul_lo_u32 v11, v4, v8
	v_mul_hi_u32 v12, v4, v8
	v_mul_hi_u32 v13, v7, v9
	v_mul_lo_u32 v9, v7, v9
	v_mul_hi_u32 v14, v7, v8
	v_mul_lo_u32 v8, v7, v8
	v_add_co_u32 v10, vcc_lo, v10, v11
	v_add_co_ci_u32_e32 v11, vcc_lo, 0, v12, vcc_lo
	v_add_co_u32 v9, vcc_lo, v10, v9
	v_add_co_ci_u32_e32 v9, vcc_lo, v11, v13, vcc_lo
	v_add_co_ci_u32_e32 v10, vcc_lo, 0, v14, vcc_lo
	v_add_co_u32 v8, vcc_lo, v9, v8
	v_add_co_ci_u32_e32 v9, vcc_lo, 0, v10, vcc_lo
	v_add_co_u32 v4, vcc_lo, v4, v8
	v_add_co_ci_u32_e32 v11, vcc_lo, v7, v9, vcc_lo
	v_mul_hi_u32 v13, v5, v4
	v_mad_u64_u32 v[9:10], null, v6, v4, 0
	v_mad_u64_u32 v[7:8], null, v5, v11, 0
	;; [unrolled: 1-line block ×3, first 2 shown]
	v_add_co_u32 v4, vcc_lo, v13, v7
	v_add_co_ci_u32_e32 v7, vcc_lo, 0, v8, vcc_lo
	v_add_co_u32 v4, vcc_lo, v4, v9
	v_add_co_ci_u32_e32 v4, vcc_lo, v7, v10, vcc_lo
	v_add_co_ci_u32_e32 v7, vcc_lo, 0, v12, vcc_lo
	v_add_co_u32 v4, vcc_lo, v4, v11
	v_add_co_ci_u32_e32 v9, vcc_lo, 0, v7, vcc_lo
	v_mul_lo_u32 v10, s21, v4
	v_mad_u64_u32 v[7:8], null, s20, v4, 0
	v_mul_lo_u32 v11, s20, v9
	v_sub_co_u32 v7, vcc_lo, v5, v7
	v_add3_u32 v8, v8, v11, v10
	v_sub_nc_u32_e32 v10, v6, v8
	v_subrev_co_ci_u32_e64 v10, s0, s21, v10, vcc_lo
	v_add_co_u32 v11, s0, v4, 2
	v_add_co_ci_u32_e64 v12, s0, 0, v9, s0
	v_sub_co_u32 v13, s0, v7, s20
	v_sub_co_ci_u32_e32 v8, vcc_lo, v6, v8, vcc_lo
	v_subrev_co_ci_u32_e64 v10, s0, 0, v10, s0
	v_cmp_le_u32_e32 vcc_lo, s20, v13
	v_cmp_eq_u32_e64 s0, s21, v8
	v_cndmask_b32_e64 v13, 0, -1, vcc_lo
	v_cmp_le_u32_e32 vcc_lo, s21, v10
	v_cndmask_b32_e64 v14, 0, -1, vcc_lo
	v_cmp_le_u32_e32 vcc_lo, s20, v7
	;; [unrolled: 2-line block ×3, first 2 shown]
	v_cndmask_b32_e64 v15, 0, -1, vcc_lo
	v_cmp_eq_u32_e32 vcc_lo, s21, v10
	v_cndmask_b32_e64 v7, v15, v7, s0
	v_cndmask_b32_e32 v10, v14, v13, vcc_lo
	v_add_co_u32 v13, vcc_lo, v4, 1
	v_add_co_ci_u32_e32 v14, vcc_lo, 0, v9, vcc_lo
	v_cmp_ne_u32_e32 vcc_lo, 0, v10
	v_cndmask_b32_e32 v8, v14, v12, vcc_lo
	v_cndmask_b32_e32 v10, v13, v11, vcc_lo
	v_cmp_ne_u32_e32 vcc_lo, 0, v7
	v_cndmask_b32_e32 v8, v9, v8, vcc_lo
	v_cndmask_b32_e32 v7, v4, v10, vcc_lo
.LBB0_4:                                ;   in Loop: Header=BB0_2 Depth=1
	s_andn2_saveexec_b32 s0, s1
	s_cbranch_execz .LBB0_6
; %bb.5:                                ;   in Loop: Header=BB0_2 Depth=1
	v_cvt_f32_u32_e32 v4, s20
	s_sub_i32 s1, 0, s20
	v_rcp_iflag_f32_e32 v4, v4
	v_mul_f32_e32 v4, 0x4f7ffffe, v4
	v_cvt_u32_f32_e32 v4, v4
	v_mul_lo_u32 v7, s1, v4
	v_mul_hi_u32 v7, v4, v7
	v_add_nc_u32_e32 v4, v4, v7
	v_mul_hi_u32 v4, v5, v4
	v_mul_lo_u32 v7, v4, s20
	v_add_nc_u32_e32 v8, 1, v4
	v_sub_nc_u32_e32 v7, v5, v7
	v_subrev_nc_u32_e32 v9, s20, v7
	v_cmp_le_u32_e32 vcc_lo, s20, v7
	v_cndmask_b32_e32 v7, v7, v9, vcc_lo
	v_cndmask_b32_e32 v4, v4, v8, vcc_lo
	v_cmp_le_u32_e32 vcc_lo, s20, v7
	v_add_nc_u32_e32 v8, 1, v4
	v_cndmask_b32_e32 v7, v4, v8, vcc_lo
	v_mov_b32_e32 v8, v3
.LBB0_6:                                ;   in Loop: Header=BB0_2 Depth=1
	s_or_b32 exec_lo, exec_lo, s0
	s_load_dwordx2 s[0:1], s[6:7], 0x0
	v_mul_lo_u32 v4, v8, s20
	v_mul_lo_u32 v11, v7, s21
	v_mad_u64_u32 v[9:10], null, v7, s20, 0
	s_add_u32 s18, s18, 1
	s_addc_u32 s19, s19, 0
	s_add_u32 s6, s6, 8
	s_addc_u32 s7, s7, 0
	;; [unrolled: 2-line block ×3, first 2 shown]
	v_add3_u32 v4, v10, v11, v4
	v_sub_co_u32 v5, vcc_lo, v5, v9
	v_sub_co_ci_u32_e32 v4, vcc_lo, v6, v4, vcc_lo
	s_waitcnt lgkmcnt(0)
	v_mul_lo_u32 v6, s1, v5
	v_mul_lo_u32 v4, s0, v4
	v_mad_u64_u32 v[1:2], null, s0, v5, v[1:2]
	v_cmp_ge_u64_e64 s0, s[18:19], s[10:11]
	s_and_b32 vcc_lo, exec_lo, s0
	v_add3_u32 v2, v6, v2, v4
	s_cbranch_vccnz .LBB0_9
; %bb.7:                                ;   in Loop: Header=BB0_2 Depth=1
	v_mov_b32_e32 v5, v7
	v_mov_b32_e32 v6, v8
	s_branch .LBB0_2
.LBB0_8:
	v_mov_b32_e32 v8, v6
	v_mov_b32_e32 v7, v5
.LBB0_9:
	s_lshl_b64 s[0:1], s[10:11], 3
	v_mul_hi_u32 v3, 0x3333334, v0
	s_add_u32 s0, s14, s0
	s_addc_u32 s1, s15, s1
	s_load_dwordx2 s[4:5], s[4:5], 0x20
	s_load_dwordx2 s[0:1], s[0:1], 0x0
	v_mul_u32_u24_e32 v3, 0x50, v3
	v_sub_nc_u32_e32 v99, v0, v3
	v_add_nc_u32_e32 v105, 0x50, v99
	v_add_nc_u32_e32 v104, 0xa0, v99
	;; [unrolled: 1-line block ×3, first 2 shown]
	s_waitcnt lgkmcnt(0)
	v_cmp_gt_u64_e32 vcc_lo, s[4:5], v[7:8]
	v_mul_lo_u32 v3, s0, v8
	v_mul_lo_u32 v4, s1, v7
	v_mad_u64_u32 v[0:1], null, s0, v7, v[1:2]
	v_cmp_le_u64_e64 s0, s[4:5], v[7:8]
                                        ; implicit-def: $sgpr4
	v_add3_u32 v1, v4, v1, v3
	s_and_saveexec_b32 s1, s0
	s_xor_b32 s0, exec_lo, s1
; %bb.10:
	v_add_nc_u32_e32 v105, 0x50, v99
	v_add_nc_u32_e32 v104, 0xa0, v99
	;; [unrolled: 1-line block ×3, first 2 shown]
	s_mov_b32 s4, 0
; %bb.11:
	s_or_saveexec_b32 s1, s0
	v_lshlrev_b64 v[74:75], 4, v[0:1]
	v_mov_b32_e32 v98, s4
                                        ; implicit-def: $vgpr12_vgpr13
                                        ; implicit-def: $vgpr24_vgpr25
                                        ; implicit-def: $vgpr28_vgpr29
                                        ; implicit-def: $vgpr8_vgpr9
                                        ; implicit-def: $vgpr16_vgpr17
                                        ; implicit-def: $vgpr32_vgpr33
                                        ; implicit-def: $vgpr20_vgpr21
                                        ; implicit-def: $vgpr44_vgpr45
                                        ; implicit-def: $vgpr48_vgpr49
                                        ; implicit-def: $vgpr52_vgpr53
                                        ; implicit-def: $vgpr56_vgpr57
                                        ; implicit-def: $vgpr64_vgpr65
                                        ; implicit-def: $vgpr60_vgpr61
                                        ; implicit-def: $vgpr40_vgpr41
                                        ; implicit-def: $vgpr36_vgpr37
                                        ; implicit-def: $vgpr4_vgpr5
	s_xor_b32 exec_lo, exec_lo, s1
	s_cbranch_execz .LBB0_13
; %bb.12:
	v_mad_u64_u32 v[0:1], null, s2, v99, 0
	v_mad_u64_u32 v[2:3], null, s2, v105, 0
	;; [unrolled: 1-line block ×4, first 2 shown]
	v_add_co_u32 v55, s0, s12, v74
	v_mad_u64_u32 v[4:5], null, s3, v99, v[1:2]
	v_add_co_ci_u32_e64 v56, s0, s13, v75, s0
	v_mov_b32_e32 v5, v15
	v_add_nc_u32_e32 v20, 0x140, v99
	v_add_nc_u32_e32 v21, 0x190, v99
	;; [unrolled: 1-line block ×3, first 2 shown]
	v_mad_u64_u32 v[8:9], null, s3, v105, v[3:4]
	v_mov_b32_e32 v1, v4
	v_mov_b32_e32 v4, v7
	v_mad_u64_u32 v[16:17], null, s2, v20, 0
	v_mad_u64_u32 v[18:19], null, s2, v21, 0
	v_mov_b32_e32 v3, v8
	v_lshlrev_b64 v[0:1], 4, v[0:1]
	v_mad_u64_u32 v[7:8], null, s3, v104, v[4:5]
	v_add_nc_u32_e32 v23, 0x230, v99
	v_lshlrev_b64 v[2:3], 4, v[2:3]
	v_or_b32_e32 v34, 0x280, v99
	v_add_co_u32 v0, s0, v55, v0
	v_add_co_ci_u32_e64 v1, s0, v56, v1, s0
	v_add_co_u32 v8, s0, v55, v2
	v_add_co_ci_u32_e64 v9, s0, v56, v3, s0
	v_mad_u64_u32 v[2:3], null, s3, v100, v[5:6]
	v_mad_u64_u32 v[30:31], null, s2, v34, 0
	v_add_nc_u32_e32 v36, 0x2d0, v99
	v_add_nc_u32_e32 v38, 0x320, v99
	v_add_nc_u32_e32 v40, 0x370, v99
	v_add_nc_u32_e32 v42, 0x3c0, v99
	v_mov_b32_e32 v15, v2
	s_clause 0x1
	global_load_dwordx4 v[2:5], v[0:1], off
	global_load_dwordx4 v[10:13], v[8:9], off
	v_lshlrev_b64 v[0:1], 4, v[6:7]
	v_mov_b32_e32 v6, v17
	v_mov_b32_e32 v9, v19
	v_lshlrev_b64 v[7:8], 4, v[14:15]
	v_add_nc_u32_e32 v57, 0x4b0, v99
	v_mov_b32_e32 v98, v99
	v_add_co_u32 v0, s0, v55, v0
	v_add_co_ci_u32_e64 v1, s0, v56, v1, s0
	v_mad_u64_u32 v[14:15], null, s3, v20, v[6:7]
	v_add_co_u32 v6, s0, v55, v7
	v_add_co_ci_u32_e64 v7, s0, v56, v8, s0
	v_mad_u64_u32 v[48:49], null, s2, v57, 0
	v_mov_b32_e32 v17, v14
	v_lshlrev_b64 v[14:15], 4, v[16:17]
	v_add_co_u32 v14, s0, v55, v14
	v_add_co_ci_u32_e64 v15, s0, v56, v15, s0
	s_waitcnt vmcnt(0)
	v_mad_u64_u32 v[19:20], null, s3, v21, v[9:10]
	v_mad_u64_u32 v[20:21], null, s2, v22, 0
	v_lshlrev_b64 v[16:17], 4, v[18:19]
	v_mad_u64_u32 v[18:19], null, s2, v23, 0
	v_mov_b32_e32 v8, v21
	v_add_co_u32 v16, s0, v55, v16
	v_mad_u64_u32 v[8:9], null, s3, v22, v[8:9]
	v_mov_b32_e32 v9, v19
	v_add_co_ci_u32_e64 v17, s0, v56, v17, s0
	v_mad_u64_u32 v[32:33], null, s3, v23, v[9:10]
	v_mov_b32_e32 v21, v8
	s_clause 0x3
	global_load_dwordx4 v[22:25], v[0:1], off
	global_load_dwordx4 v[26:29], v[6:7], off
	;; [unrolled: 1-line block ×4, first 2 shown]
	v_lshlrev_b64 v[0:1], 4, v[20:21]
	v_mov_b32_e32 v20, v31
	v_mov_b32_e32 v19, v32
	v_mad_u64_u32 v[32:33], null, s2, v36, 0
	v_mad_u64_u32 v[20:21], null, s3, v34, v[20:21]
	;; [unrolled: 1-line block ×3, first 2 shown]
	v_lshlrev_b64 v[18:19], 4, v[18:19]
	v_mov_b32_e32 v21, v33
	v_add_co_u32 v0, s0, v55, v0
	v_mov_b32_e32 v31, v20
	v_add_co_ci_u32_e64 v1, s0, v56, v1, s0
	v_add_co_u32 v18, s0, v55, v18
	v_lshlrev_b64 v[30:31], 4, v[30:31]
	v_add_co_ci_u32_e64 v19, s0, v56, v19, s0
	s_waitcnt vmcnt(3)
	v_mad_u64_u32 v[20:21], null, s3, v36, v[21:22]
	v_mov_b32_e32 v21, v35
	v_mad_u64_u32 v[36:37], null, s2, v40, 0
	v_mov_b32_e32 v33, v20
	v_mad_u64_u32 v[20:21], null, s3, v38, v[21:22]
	v_add_co_u32 v38, s0, v55, v30
	v_add_co_ci_u32_e64 v39, s0, v56, v31, s0
	v_lshlrev_b64 v[30:31], 4, v[32:33]
	v_mov_b32_e32 v21, v37
	v_mad_u64_u32 v[32:33], null, s2, v42, 0
	v_mov_b32_e32 v35, v20
	v_mad_u64_u32 v[20:21], null, s3, v40, v[21:22]
	v_add_co_u32 v40, s0, v55, v30
	v_add_co_ci_u32_e64 v41, s0, v56, v31, s0
	v_mov_b32_e32 v21, v33
	v_lshlrev_b64 v[30:31], 4, v[34:35]
	v_add_nc_u32_e32 v34, 0x410, v99
	v_mov_b32_e32 v37, v20
	v_add_nc_u32_e32 v35, 0x460, v99
	v_mad_u64_u32 v[20:21], null, s3, v42, v[21:22]
	v_mad_u64_u32 v[42:43], null, s2, v34, 0
	;; [unrolled: 1-line block ×3, first 2 shown]
	v_add_co_u32 v44, s0, v55, v30
	v_add_co_ci_u32_e64 v45, s0, v56, v31, s0
	v_mov_b32_e32 v21, v43
	v_lshlrev_b64 v[30:31], 4, v[36:37]
	v_mov_b32_e32 v33, v20
	v_mad_u64_u32 v[20:21], null, s3, v34, v[21:22]
	v_mov_b32_e32 v21, v47
	v_add_co_u32 v50, s0, v55, v30
	v_mov_b32_e32 v30, v49
	v_add_co_ci_u32_e64 v51, s0, v56, v31, s0
	v_mad_u64_u32 v[52:53], null, s3, v35, v[21:22]
	v_mov_b32_e32 v43, v20
	v_mad_u64_u32 v[20:21], null, s3, v57, v[30:31]
	v_lshlrev_b64 v[53:54], 4, v[32:33]
	s_clause 0x1
	global_load_dwordx4 v[34:37], v[0:1], off
	global_load_dwordx4 v[30:33], v[18:19], off
	v_lshlrev_b64 v[0:1], 4, v[42:43]
	v_mov_b32_e32 v47, v52
	v_mov_b32_e32 v49, v20
	v_add_co_u32 v52, s0, v55, v53
	v_lshlrev_b64 v[18:19], 4, v[46:47]
	v_add_co_ci_u32_e64 v53, s0, v56, v54, s0
	v_add_co_u32 v0, s0, v55, v0
	v_lshlrev_b64 v[20:21], 4, v[48:49]
	v_add_co_ci_u32_e64 v1, s0, v56, v1, s0
	v_add_co_u32 v58, s0, v55, v18
	v_add_co_ci_u32_e64 v59, s0, v56, v19, s0
	v_add_co_u32 v60, s0, v55, v20
	v_add_co_ci_u32_e64 v61, s0, v56, v21, s0
	s_clause 0x7
	global_load_dwordx4 v[18:21], v[38:39], off
	global_load_dwordx4 v[38:41], v[40:41], off
	;; [unrolled: 1-line block ×8, first 2 shown]
.LBB0_13:
	s_or_b32 exec_lo, exec_lo, s1
	s_waitcnt vmcnt(7)
	v_add_f64 v[0:1], v[2:3], -v[18:19]
	s_waitcnt vmcnt(1)
	v_add_f64 v[64:65], v[36:37], -v[64:65]
	v_add_f64 v[38:39], v[10:11], -v[38:39]
	;; [unrolled: 1-line block ×6, first 2 shown]
	s_waitcnt vmcnt(0)
	v_add_f64 v[52:53], v[32:33], -v[60:61]
	v_add_f64 v[56:57], v[6:7], -v[50:51]
	;; [unrolled: 1-line block ×8, first 2 shown]
	s_mov_b32 s0, 0x667f3bcd
	s_mov_b32 s1, 0x3fe6a09e
	;; [unrolled: 1-line block ×7, first 2 shown]
	v_fma_f64 v[2:3], v[2:3], 2.0, -v[0:1]
	v_fma_f64 v[36:37], v[36:37], 2.0, -v[64:65]
	;; [unrolled: 1-line block ×3, first 2 shown]
	v_add_f64 v[60:61], v[38:39], -v[66:67]
	v_fma_f64 v[26:27], v[26:27], 2.0, -v[46:47]
	v_add_f64 v[62:63], v[0:1], -v[18:19]
	v_add_f64 v[76:77], v[42:43], -v[64:65]
	;; [unrolled: 1-line block ×3, first 2 shown]
	v_fma_f64 v[70:71], v[6:7], 2.0, -v[56:57]
	v_fma_f64 v[14:15], v[14:15], 2.0, -v[54:55]
	;; [unrolled: 1-line block ×7, first 2 shown]
	v_add_f64 v[50:51], v[44:45], v[50:51]
	v_add_f64 v[52:53], v[54:55], v[40:41]
	v_add_f64 v[32:33], v[48:49], v[58:59]
	v_fma_f64 v[22:23], v[22:23], 2.0, -v[42:43]
	v_fma_f64 v[12:13], v[12:13], 2.0, -v[40:41]
	;; [unrolled: 1-line block ×3, first 2 shown]
	s_mov_b32 s6, s10
	s_mov_b32 s14, 0xa6aea964
	;; [unrolled: 1-line block ×4, first 2 shown]
	v_fma_f64 v[38:39], v[38:39], 2.0, -v[60:61]
	s_mov_b32 s4, s14
	v_fma_f64 v[0:1], v[0:1], 2.0, -v[62:63]
	v_fma_f64 v[78:79], v[42:43], 2.0, -v[76:77]
	;; [unrolled: 1-line block ×3, first 2 shown]
	v_add_f64 v[46:47], v[2:3], -v[70:71]
	v_fma_f64 v[54:55], v[68:69], s[0:1], v[60:61]
	v_add_f64 v[64:65], v[6:7], -v[36:37]
	v_fma_f64 v[36:37], v[76:77], s[0:1], v[62:63]
	v_add_f64 v[14:15], v[10:11], -v[14:15]
	v_add_f64 v[70:71], v[24:25], -v[30:31]
	;; [unrolled: 1-line block ×3, first 2 shown]
	v_fma_f64 v[80:81], v[44:45], 2.0, -v[50:51]
	v_fma_f64 v[40:41], v[40:41], 2.0, -v[52:53]
	;; [unrolled: 1-line block ×3, first 2 shown]
	v_add_f64 v[66:67], v[22:23], -v[34:35]
	v_fma_f64 v[58:59], v[32:33], s[0:1], v[52:53]
	v_add_f64 v[16:17], v[12:13], -v[16:17]
	v_lshl_add_u32 v106, v99, 7, 0
	v_lshl_add_u32 v101, v105, 3, 0
	;; [unrolled: 1-line block ×3, first 2 shown]
	v_mul_f64 v[92:93], v[76:77], s[0:1]
	v_mul_f64 v[94:95], v[50:51], s[0:1]
	v_mad_i32_i24 v103, 0xffffff88, v99, v106
	v_fma_f64 v[34:35], v[78:79], s[16:17], v[0:1]
	v_fma_f64 v[44:45], v[42:43], s[16:17], v[38:39]
	v_fma_f64 v[2:3], v[2:3], 2.0, -v[46:47]
	v_fma_f64 v[30:31], v[32:33], s[16:17], v[54:55]
	v_add_f64 v[84:85], v[46:47], -v[64:65]
	v_fma_f64 v[82:83], v[50:51], s[16:17], v[36:37]
	v_fma_f64 v[10:11], v[10:11], 2.0, -v[14:15]
	v_add_f64 v[86:87], v[14:15], -v[70:71]
	v_fma_f64 v[26:27], v[26:27], 2.0, -v[28:29]
	v_add_nc_u32_e32 v113, 0x1400, v103
	v_add_nc_u32_e32 v114, 0x2000, v103
	v_fma_f64 v[36:37], v[48:49], s[16:17], v[40:41]
	v_fma_f64 v[22:23], v[22:23], 2.0, -v[66:67]
	v_fma_f64 v[54:55], v[68:69], s[0:1], v[58:59]
	v_add_f64 v[107:108], v[28:29], v[16:17]
	v_fma_f64 v[58:59], v[12:13], 2.0, -v[16:17]
	v_fma_f64 v[12:13], v[24:25], 2.0, -v[70:71]
	v_add_nc_u32_e32 v115, 0x800, v103
	v_add_nc_u32_e32 v116, 0x1800, v103
	v_mul_f64 v[90:91], v[78:79], s[0:1]
	v_mul_f64 v[96:97], v[80:81], s[0:1]
	v_fma_f64 v[88:89], v[80:81], s[16:17], v[34:35]
	v_fma_f64 v[32:33], v[48:49], s[16:17], v[44:45]
	v_fma_f64 v[34:35], v[60:61], 2.0, -v[30:31]
	v_fma_f64 v[44:45], v[46:47], 2.0, -v[84:85]
	;; [unrolled: 1-line block ×4, first 2 shown]
	v_add_f64 v[60:61], v[10:11], -v[26:27]
	v_fma_f64 v[14:15], v[30:31], s[6:7], v[82:83]
	v_fma_f64 v[62:63], v[42:43], s[0:1], v[36:37]
	v_add_f64 v[42:43], v[2:3], -v[22:23]
	v_fma_f64 v[68:69], v[52:53], 2.0, -v[54:55]
	v_fma_f64 v[111:112], v[16:17], 2.0, -v[107:108]
	v_add_f64 v[70:71], v[58:59], -v[12:13]
	v_fma_f64 v[48:49], v[0:1], 2.0, -v[88:89]
	v_fma_f64 v[36:37], v[38:39], 2.0, -v[32:33]
	v_fma_f64 v[0:1], v[86:87], s[0:1], v[84:85]
	v_fma_f64 v[22:23], v[32:33], s[4:5], v[88:89]
	;; [unrolled: 1-line block ×4, first 2 shown]
	v_fma_f64 v[24:25], v[10:11], 2.0, -v[60:61]
	v_fma_f64 v[72:73], v[40:41], 2.0, -v[62:63]
	;; [unrolled: 1-line block ×3, first 2 shown]
	v_fma_f64 v[2:3], v[54:55], s[14:15], v[14:15]
	v_add_f64 v[10:11], v[42:43], -v[70:71]
	v_fma_f64 v[26:27], v[36:37], s[10:11], v[48:49]
	v_fma_f64 v[0:1], v[107:108], s[16:17], v[0:1]
	v_fma_f64 v[16:17], v[68:69], s[10:11], v[16:17]
	v_fma_f64 v[14:15], v[111:112], s[16:17], v[12:13]
	v_fma_f64 v[12:13], v[62:63], s[10:11], v[22:23]
	v_add_f64 v[22:23], v[52:53], -v[24:25]
	v_fma_f64 v[28:29], v[82:83], 2.0, -v[2:3]
	v_mul_f64 v[82:83], v[109:110], s[0:1]
	v_fma_f64 v[38:39], v[42:43], 2.0, -v[10:11]
	v_fma_f64 v[24:25], v[72:73], s[14:15], v[26:27]
	v_fma_f64 v[26:27], v[84:85], 2.0, -v[0:1]
	v_mul_f64 v[84:85], v[86:87], s[0:1]
	v_mul_f64 v[86:87], v[111:112], s[0:1]
	v_fma_f64 v[42:43], v[44:45], 2.0, -v[14:15]
	v_fma_f64 v[44:45], v[46:47], 2.0, -v[16:17]
	;; [unrolled: 1-line block ×3, first 2 shown]
	v_mul_f64 v[88:89], v[107:108], s[0:1]
	v_cmp_gt_u32_e64 s0, 16, v99
	v_fma_f64 v[46:47], v[52:53], 2.0, -v[22:23]
	v_add_nc_u32_e32 v52, 0x1000, v103
	v_fma_f64 v[48:49], v[48:49], 2.0, -v[24:25]
	ds_write_b128 v106, v[0:3] offset:112
	ds_write_b128 v106, v[26:29] offset:48
	;; [unrolled: 1-line block ×7, first 2 shown]
	ds_write_b128 v106, v[46:49]
	s_waitcnt lgkmcnt(0)
	s_barrier
	buffer_gl0_inv
	ds_read_b64 v[78:79], v101
	ds_read_b64 v[76:77], v102
	ds_read_b64 v[80:81], v103 offset:9472
	ds_read2st64_b64 v[14:17], v103 offset1:4
	ds_read2_b64 v[50:53], v52 offset1:80
	ds_read2_b64 v[46:49], v113 offset0:32 offset1:128
	ds_read2_b64 v[38:41], v114 offset1:80
	ds_read2_b64 v[42:45], v115 offset0:80 offset1:160
	ds_read2_b64 v[26:29], v116 offset0:80 offset1:160
	v_mul_i32_i24_e32 v0, 0xffffff88, v99
	v_lshl_add_u32 v103, v100, 3, 0
                                        ; implicit-def: $vgpr12_vgpr13
                                        ; implicit-def: $vgpr24_vgpr25
	v_add_nc_u32_e32 v100, v106, v0
	s_and_saveexec_b32 s1, s0
	s_cbranch_execz .LBB0_15
; %bb.14:
	v_add_nc_u32_e32 v0, 0x180, v100
	ds_read_b64 v[2:3], v103
	ds_read2st64_b64 v[22:25], v0 offset0:7 offset1:11
	ds_read2st64_b64 v[10:13], v0 offset0:15 offset1:19
.LBB0_15:
	s_or_b32 exec_lo, exec_lo, s1
	v_add_f64 v[0:1], v[4:5], -v[20:21]
	v_fma_f64 v[8:9], v[8:9], 2.0, -v[18:19]
	v_fma_f64 v[6:7], v[6:7], 2.0, -v[64:65]
	v_fma_f64 v[58:59], v[58:59], 2.0, -v[70:71]
	s_waitcnt lgkmcnt(0)
	s_barrier
	buffer_gl0_inv
	v_add_f64 v[20:21], v[56:57], v[0:1]
	v_fma_f64 v[4:5], v[4:5], 2.0, -v[0:1]
	v_fma_f64 v[0:1], v[0:1], 2.0, -v[20:21]
	v_add_f64 v[8:9], v[4:5], -v[8:9]
	v_add_f64 v[18:19], v[20:21], v[94:95]
	v_add_f64 v[56:57], v[0:1], -v[96:97]
	v_add_f64 v[66:67], v[66:67], v[8:9]
	v_add_f64 v[92:93], v[92:93], v[18:19]
	v_fma_f64 v[4:5], v[4:5], 2.0, -v[8:9]
	v_add_f64 v[90:91], v[90:91], v[56:57]
	v_fma_f64 v[8:9], v[8:9], 2.0, -v[66:67]
	v_fma_f64 v[64:65], v[20:21], 2.0, -v[92:93]
	v_add_f64 v[94:95], v[4:5], -v[6:7]
	v_add_f64 v[6:7], v[88:89], v[66:67]
	v_fma_f64 v[20:21], v[54:55], s[6:7], v[92:93]
	v_fma_f64 v[0:1], v[0:1], 2.0, -v[90:91]
	v_add_f64 v[54:55], v[8:9], -v[86:87]
	v_fma_f64 v[56:57], v[68:69], s[14:15], v[64:65]
	v_fma_f64 v[62:63], v[62:63], s[4:5], v[90:91]
	v_fma_f64 v[68:69], v[4:5], 2.0, -v[94:95]
	v_add_f64 v[18:19], v[84:85], v[6:7]
	v_fma_f64 v[20:21], v[30:31], s[4:5], v[20:21]
	v_add_f64 v[4:5], v[60:61], v[94:95]
	v_fma_f64 v[70:71], v[72:73], s[10:11], v[0:1]
	;; [unrolled: 2-line block ×3, first 2 shown]
	v_fma_f64 v[6:7], v[32:33], s[6:7], v[62:63]
	v_add_f64 v[30:31], v[68:69], -v[58:59]
	v_fma_f64 v[34:35], v[66:67], 2.0, -v[18:19]
	v_add_nc_u32_e32 v82, 0x1800, v100
	v_fma_f64 v[58:59], v[94:95], 2.0, -v[4:5]
	v_fma_f64 v[32:33], v[36:37], s[4:5], v[70:71]
	v_fma_f64 v[36:37], v[92:93], 2.0, -v[20:21]
	v_fma_f64 v[62:63], v[8:9], 2.0, -v[54:55]
	;; [unrolled: 1-line block ×5, first 2 shown]
	v_add_nc_u32_e32 v8, 0x2000, v100
	v_add_nc_u32_e32 v9, 0x800, v100
	v_fma_f64 v[68:69], v[0:1], 2.0, -v[32:33]
	v_add_nc_u32_e32 v0, 0x1000, v100
	v_add_nc_u32_e32 v1, 0x1400, v100
	ds_write_b128 v106, v[18:21] offset:112
	ds_write_b128 v106, v[34:37] offset:48
	;; [unrolled: 1-line block ×7, first 2 shown]
	ds_write_b128 v106, v[66:69]
	s_waitcnt lgkmcnt(0)
	s_barrier
	buffer_gl0_inv
	ds_read2st64_b64 v[4:7], v100 offset1:4
	ds_read2_b64 v[70:73], v0 offset1:80
	ds_read2_b64 v[66:69], v1 offset0:32 offset1:128
	ds_read2_b64 v[58:61], v8 offset1:80
	ds_read2_b64 v[54:57], v9 offset0:80 offset1:160
	ds_read2_b64 v[62:65], v82 offset0:80 offset1:160
	ds_read_b64 v[8:9], v101
	ds_read_b64 v[0:1], v102
	ds_read_b64 v[84:85], v100 offset:9472
                                        ; implicit-def: $vgpr32_vgpr33
                                        ; implicit-def: $vgpr36_vgpr37
	s_and_saveexec_b32 s1, s0
	s_cbranch_execz .LBB0_17
; %bb.16:
	v_add_nc_u32_e32 v18, 0x180, v100
	ds_read_b64 v[20:21], v103
	ds_read2st64_b64 v[34:37], v18 offset0:7 offset1:11
	ds_read2st64_b64 v[30:33], v18 offset0:15 offset1:19
.LBB0_17:
	s_or_b32 exec_lo, exec_lo, s1
	v_and_b32_e32 v86, 15, v99
	s_mov_b32 s6, 0x134454ff
	s_mov_b32 s7, 0x3fee6f0e
	;; [unrolled: 1-line block ×4, first 2 shown]
	v_lshlrev_b32_e32 v18, 6, v86
	s_mov_b32 s10, 0x4755a5e
	s_mov_b32 s11, 0x3fe2cf23
	;; [unrolled: 1-line block ×4, first 2 shown]
	s_clause 0x3
	global_load_dwordx4 v[87:90], v18, s[8:9] offset:16
	global_load_dwordx4 v[91:94], v18, s[8:9] offset:32
	global_load_dwordx4 v[106:109], v18, s[8:9]
	global_load_dwordx4 v[110:113], v18, s[8:9] offset:48
	v_lshlrev_b32_e32 v18, 6, v99
	v_lshrrev_b32_e32 v97, 4, v104
	s_mov_b32 s16, 0x372fe950
	s_mov_b32 s17, 0x3fd3c6ef
	v_and_b32_e32 v18, 0x3c0, v18
	v_mul_lo_u32 v97, 0x50, v97
	s_clause 0x3
	global_load_dwordx4 v[114:117], v18, s[8:9]
	global_load_dwordx4 v[118:121], v18, s[8:9] offset:16
	global_load_dwordx4 v[122:125], v18, s[8:9] offset:32
	;; [unrolled: 1-line block ×3, first 2 shown]
	s_waitcnt vmcnt(0) lgkmcnt(0)
	s_barrier
	buffer_gl0_inv
	v_mul_f64 v[18:19], v[70:71], v[89:90]
	v_mul_f64 v[95:96], v[72:73], v[89:90]
	;; [unrolled: 1-line block ×18, first 2 shown]
	v_fma_f64 v[82:83], v[50:51], v[87:88], -v[18:19]
	v_fma_f64 v[52:53], v[52:53], v[87:88], -v[95:96]
	v_mul_f64 v[95:96], v[16:17], v[108:109]
	v_fma_f64 v[18:19], v[70:71], v[87:88], v[130:131]
	v_mul_f64 v[130:131], v[84:85], v[112:113]
	v_fma_f64 v[70:71], v[48:49], v[91:92], -v[134:135]
	v_fma_f64 v[50:51], v[72:73], v[87:88], v[132:133]
	v_fma_f64 v[48:49], v[46:47], v[87:88], -v[136:137]
	v_mul_f64 v[132:133], v[34:35], v[116:117]
	v_fma_f64 v[46:47], v[66:67], v[87:88], v[89:90]
	v_mul_f64 v[87:88], v[42:43], v[108:109]
	v_mul_f64 v[89:90], v[40:41], v[112:113]
	v_fma_f64 v[66:67], v[16:17], v[106:107], -v[142:143]
	v_fma_f64 v[72:73], v[38:39], v[110:111], -v[144:145]
	;; [unrolled: 1-line block ×5, first 2 shown]
	v_mul_f64 v[116:117], v[22:23], v[116:117]
	v_fma_f64 v[38:39], v[44:45], v[106:107], -v[150:151]
	v_mul_f64 v[108:109], v[44:45], v[108:109]
	v_mul_f64 v[134:135], v[36:37], v[120:121]
	;; [unrolled: 1-line block ×3, first 2 shown]
	v_fma_f64 v[62:63], v[62:63], v[91:92], v[152:153]
	v_fma_f64 v[64:65], v[64:65], v[91:92], v[93:94]
	;; [unrolled: 1-line block ×4, first 2 shown]
	v_fma_f64 v[80:81], v[80:81], v[110:111], -v[130:131]
	v_mul_f64 v[95:96], v[24:25], v[120:121]
	v_fma_f64 v[58:59], v[68:69], v[91:92], v[138:139]
	v_fma_f64 v[68:69], v[28:29], v[91:92], -v[146:147]
	v_add_f64 v[120:121], v[82:83], v[70:71]
	v_fma_f64 v[28:29], v[22:23], v[114:115], -v[132:133]
	v_fma_f64 v[54:55], v[54:55], v[106:107], v[87:88]
	v_fma_f64 v[22:23], v[60:61], v[110:111], v[89:90]
	v_add_f64 v[89:90], v[66:67], -v[82:83]
	v_add_f64 v[91:92], v[66:67], v[72:73]
	v_add_f64 v[60:61], v[52:53], v[16:17]
	v_add_f64 v[93:94], v[72:73], -v[70:71]
	v_add_f64 v[87:88], v[42:43], v[40:41]
	v_fma_f64 v[26:27], v[34:35], v[114:115], v[116:117]
	v_add_f64 v[114:115], v[40:41], -v[16:17]
	v_fma_f64 v[56:57], v[56:57], v[106:107], v[108:109]
	v_fma_f64 v[34:35], v[24:25], v[118:119], -v[134:135]
	v_fma_f64 v[24:25], v[84:85], v[110:111], v[112:113]
	v_add_f64 v[106:107], v[82:83], -v[66:67]
	v_add_f64 v[108:109], v[70:71], -v[72:73]
	;; [unrolled: 1-line block ×4, first 2 shown]
	v_add_f64 v[110:111], v[38:39], v[80:81]
	v_add_f64 v[130:131], v[52:53], -v[42:43]
	v_add_f64 v[132:133], v[16:17], -v[40:41]
	v_add_f64 v[116:117], v[48:49], v[68:69]
	v_fma_f64 v[120:121], v[120:121], -0.5, v[14:15]
	v_add_f64 v[134:135], v[18:19], -v[58:59]
	v_add_f64 v[136:137], v[38:39], -v[48:49]
	;; [unrolled: 1-line block ×4, first 2 shown]
	v_fma_f64 v[91:92], v[91:92], -0.5, v[14:15]
	v_fma_f64 v[60:61], v[60:61], -0.5, v[78:79]
	v_add_f64 v[142:143], v[50:51], -v[62:63]
	v_fma_f64 v[87:88], v[87:88], -0.5, v[78:79]
	v_add_f64 v[14:15], v[14:15], v[66:67]
	v_add_f64 v[78:79], v[78:79], v[42:43]
	v_add_f64 v[144:145], v[48:49], -v[38:39]
	v_add_f64 v[146:147], v[76:77], v[38:39]
	v_add_f64 v[148:149], v[68:69], -v[80:81]
	;; [unrolled: 2-line block ×3, first 2 shown]
	v_add_f64 v[106:107], v[106:107], v[108:109]
	v_add_f64 v[112:113], v[112:113], v[114:115]
	v_fma_f64 v[110:111], v[110:111], -0.5, v[76:77]
	v_fma_f64 v[36:37], v[36:37], v[118:119], v[95:96]
	v_add_f64 v[130:131], v[130:131], v[132:133]
	v_fma_f64 v[76:77], v[116:117], -0.5, v[76:77]
	v_fma_f64 v[108:109], v[84:85], s[6:7], v[120:121]
	v_fma_f64 v[116:117], v[84:85], s[4:5], v[120:121]
	v_add_f64 v[120:121], v[56:57], -v[24:25]
	v_add_f64 v[136:137], v[136:137], v[140:141]
	v_fma_f64 v[114:115], v[134:135], s[4:5], v[91:92]
	v_fma_f64 v[91:92], v[134:135], s[6:7], v[91:92]
	;; [unrolled: 1-line block ×6, first 2 shown]
	v_add_f64 v[14:15], v[14:15], v[82:83]
	v_add_f64 v[78:79], v[78:79], v[52:53]
	;; [unrolled: 1-line block ×4, first 2 shown]
	v_fma_f64 v[148:149], v[93:94], s[4:5], v[110:111]
	v_fma_f64 v[110:111], v[93:94], s[6:7], v[110:111]
	;; [unrolled: 1-line block ×8, first 2 shown]
	v_mul_f64 v[91:92], v[30:31], v[124:125]
	v_fma_f64 v[132:133], v[142:143], s[10:11], v[132:133]
	v_fma_f64 v[142:143], v[142:143], s[14:15], v[60:61]
	v_mul_f64 v[124:125], v[10:11], v[124:125]
	v_fma_f64 v[140:141], v[138:139], s[10:11], v[140:141]
	v_fma_f64 v[87:88], v[138:139], s[14:15], v[87:88]
	v_mul_f64 v[138:139], v[32:33], v[128:129]
	v_add_f64 v[14:15], v[14:15], v[70:71]
	v_lshrrev_b32_e32 v61, 4, v105
	v_mul_f64 v[104:105], v[12:13], v[128:129]
	v_add_f64 v[78:79], v[78:79], v[16:17]
	v_add_f64 v[146:147], v[146:147], v[68:69]
	v_fma_f64 v[148:149], v[120:121], s[10:11], v[148:149]
	v_fma_f64 v[110:111], v[120:121], s[14:15], v[110:111]
	v_lshrrev_b32_e32 v60, 4, v99
	v_mul_lo_u32 v128, 0x50, v61
	v_fma_f64 v[120:121], v[93:94], s[10:11], v[134:135]
	v_fma_f64 v[93:94], v[93:94], s[14:15], v[76:77]
	v_mul_u32_u24_e32 v134, 0x50, v60
	v_fma_f64 v[95:96], v[106:107], s[16:17], v[114:115]
	v_fma_f64 v[106:107], v[106:107], s[16:17], v[84:85]
	v_fma_f64 v[60:61], v[10:11], v[122:123], -v[91:92]
	v_fma_f64 v[91:92], v[89:90], s[16:17], v[108:109]
	v_fma_f64 v[89:90], v[89:90], s[16:17], v[116:117]
	;; [unrolled: 1-line block ×5, first 2 shown]
	v_fma_f64 v[76:77], v[12:13], v[126:127], -v[138:139]
	v_add_f64 v[10:11], v[14:15], v[72:73]
	v_fma_f64 v[87:88], v[130:131], s[16:17], v[87:88]
	v_fma_f64 v[32:33], v[32:33], v[126:127], v[104:105]
	v_add_f64 v[12:13], v[78:79], v[40:41]
	v_fma_f64 v[112:113], v[112:113], s[16:17], v[142:143]
	v_add_f64 v[14:15], v[146:147], v[80:81]
	v_fma_f64 v[118:119], v[144:145], s[16:17], v[148:149]
	v_fma_f64 v[110:111], v[144:145], s[16:17], v[110:111]
	v_or_b32_e32 v79, v134, v86
	v_or_b32_e32 v85, v128, v86
	v_fma_f64 v[116:117], v[136:137], s[16:17], v[120:121]
	v_fma_f64 v[93:94], v[136:137], s[16:17], v[93:94]
	v_or_b32_e32 v86, v97, v86
	v_lshl_add_u32 v78, v99, 3, 0
	v_lshl_add_u32 v84, v79, 3, 0
	;; [unrolled: 1-line block ×4, first 2 shown]
	ds_write2_b64 v84, v[10:11], v[91:92] offset1:16
	ds_write2_b64 v84, v[95:96], v[106:107] offset0:32 offset1:48
	ds_write_b64 v84, v[89:90] offset:512
	ds_write2_b64 v85, v[12:13], v[108:109] offset1:16
	ds_write2_b64 v85, v[114:115], v[87:88] offset0:32 offset1:48
	ds_write_b64 v85, v[112:113] offset:512
	;; [unrolled: 3-line block ×3, first 2 shown]
	s_and_saveexec_b32 s1, s0
	s_cbranch_execz .LBB0_19
; %bb.18:
	v_add_f64 v[10:11], v[28:29], v[76:77]
	v_add_f64 v[12:13], v[34:35], v[60:61]
	v_add_f64 v[86:87], v[26:27], -v[32:33]
	v_add_f64 v[88:89], v[2:3], v[28:29]
	v_add_f64 v[14:15], v[36:37], -v[30:31]
	v_add_f64 v[90:91], v[60:61], -v[76:77]
	v_add_f64 v[92:93], v[28:29], -v[34:35]
	v_add_f64 v[94:95], v[76:77], -v[60:61]
	v_fma_f64 v[10:11], v[10:11], -0.5, v[2:3]
	v_fma_f64 v[2:3], v[12:13], -0.5, v[2:3]
	v_add_f64 v[12:13], v[34:35], -v[28:29]
	v_add_f64 v[88:89], v[88:89], v[34:35]
	v_fma_f64 v[96:97], v[14:15], s[6:7], v[10:11]
	v_fma_f64 v[104:105], v[86:87], s[6:7], v[2:3]
	;; [unrolled: 1-line block ×4, first 2 shown]
	v_add_f64 v[12:13], v[12:13], v[90:91]
	v_add_f64 v[90:91], v[92:93], v[94:95]
	;; [unrolled: 1-line block ×3, first 2 shown]
	v_fma_f64 v[92:93], v[86:87], s[14:15], v[96:97]
	v_fma_f64 v[94:95], v[14:15], s[10:11], v[104:105]
	;; [unrolled: 1-line block ×4, first 2 shown]
	v_add_f64 v[14:15], v[88:89], v[76:77]
	v_fma_f64 v[86:87], v[12:13], s[16:17], v[92:93]
	v_fma_f64 v[88:89], v[90:91], s[16:17], v[94:95]
	;; [unrolled: 1-line block ×4, first 2 shown]
	v_add_nc_u32_e32 v12, 0x2000, v78
	ds_write2_b64 v12, v[14:15], v[88:89] offset0:176 offset1:192
	ds_write2_b64 v12, v[10:11], v[86:87] offset0:208 offset1:224
	ds_write_b64 v78, v[2:3] offset:10112
.LBB0_19:
	s_or_b32 exec_lo, exec_lo, s1
	v_add_f64 v[2:3], v[18:19], v[58:59]
	v_add_f64 v[10:11], v[44:45], v[6:7]
	;; [unrolled: 1-line block ×9, first 2 shown]
	v_add_f64 v[66:67], v[66:67], -v[72:73]
	v_add_f64 v[70:71], v[82:83], -v[70:71]
	;; [unrolled: 1-line block ×8, first 2 shown]
	s_waitcnt lgkmcnt(0)
	s_barrier
	buffer_gl0_inv
	v_fma_f64 v[2:3], v[2:3], -0.5, v[4:5]
	v_fma_f64 v[4:5], v[10:11], -0.5, v[4:5]
	v_add_f64 v[10:11], v[42:43], -v[40:41]
	v_fma_f64 v[12:13], v[12:13], -0.5, v[8:9]
	v_fma_f64 v[8:9], v[14:15], -0.5, v[8:9]
	v_add_f64 v[14:15], v[38:39], -v[80:81]
	v_fma_f64 v[38:39], v[86:87], -0.5, v[0:1]
	v_add_f64 v[40:41], v[48:49], -v[68:69]
	;; [unrolled: 2-line block ×3, first 2 shown]
	v_add_f64 v[48:49], v[22:23], -v[62:63]
	v_add_f64 v[68:69], v[56:57], -v[46:47]
	;; [unrolled: 1-line block ×3, first 2 shown]
	v_add_f64 v[50:51], v[92:93], v[50:51]
	v_add_f64 v[46:47], v[94:95], v[46:47]
	v_add_f64 v[54:55], v[62:63], -v[22:23]
	v_add_f64 v[86:87], v[64:65], -v[24:25]
	v_add_f64 v[18:19], v[90:91], v[18:19]
	v_add_f64 v[80:81], v[24:25], -v[64:65]
	v_add_f64 v[72:73], v[72:73], v[82:83]
	v_add_f64 v[44:45], v[44:45], v[96:97]
	v_fma_f64 v[88:89], v[66:67], s[4:5], v[2:3]
	v_fma_f64 v[2:3], v[66:67], s[6:7], v[2:3]
	;; [unrolled: 1-line block ×12, first 2 shown]
	v_add_f64 v[42:43], v[42:43], v[48:49]
	v_add_f64 v[50:51], v[50:51], v[62:63]
	;; [unrolled: 1-line block ×7, first 2 shown]
	v_add_nc_u32_e32 v68, 0x800, v100
	v_fma_f64 v[56:57], v[70:71], s[14:15], v[88:89]
	v_fma_f64 v[58:59], v[70:71], s[10:11], v[2:3]
	;; [unrolled: 1-line block ×12, first 2 shown]
	ds_read2st64_b64 v[0:3], v100 offset1:5
	v_add_f64 v[50:51], v[50:51], v[22:23]
	v_add_f64 v[46:47], v[46:47], v[24:25]
	;; [unrolled: 1-line block ×3, first 2 shown]
	v_fma_f64 v[56:57], v[72:73], s[16:17], v[56:57]
	v_fma_f64 v[58:59], v[72:73], s[16:17], v[58:59]
	;; [unrolled: 1-line block ×5, first 2 shown]
	v_add_nc_u32_e32 v12, 0x1400, v100
	v_fma_f64 v[44:45], v[44:45], s[16:17], v[4:5]
	v_add_nc_u32_e32 v4, 0x1000, v100
	v_add_nc_u32_e32 v13, 0x1800, v100
	v_fma_f64 v[86:87], v[52:53], s[16:17], v[10:11]
	v_fma_f64 v[38:39], v[52:53], s[16:17], v[38:39]
	;; [unrolled: 1-line block ×3, first 2 shown]
	v_add_nc_u32_e32 v14, 0x2000, v100
	v_fma_f64 v[82:83], v[48:49], s[16:17], v[16:17]
	v_fma_f64 v[48:49], v[48:49], s[16:17], v[8:9]
	ds_read_b64 v[62:63], v101
	ds_read_b64 v[66:67], v102
	ds_read2_b64 v[8:11], v68 offset0:144 offset1:224
	ds_read2_b64 v[4:7], v4 offset0:48 offset1:128
	;; [unrolled: 1-line block ×4, first 2 shown]
	ds_read_b64 v[68:69], v103
	ds_read_b64 v[64:65], v100 offset:9600
	ds_read2_b64 v[12:15], v14 offset0:16 offset1:96
	v_fma_f64 v[40:41], v[54:55], s[16:17], v[40:41]
	s_waitcnt lgkmcnt(0)
	s_barrier
	buffer_gl0_inv
	ds_write2_b64 v84, v[70:71], v[56:57] offset1:16
	ds_write2_b64 v84, v[72:73], v[44:45] offset0:32 offset1:48
	ds_write_b64 v84, v[58:59] offset:512
	ds_write2_b64 v85, v[50:51], v[80:81] offset1:16
	ds_write2_b64 v85, v[82:83], v[48:49] offset0:32 offset1:48
	ds_write_b64 v85, v[42:43] offset:512
	;; [unrolled: 3-line block ×3, first 2 shown]
	s_and_saveexec_b32 s1, s0
	s_cbranch_execz .LBB0_21
; %bb.20:
	v_add_f64 v[38:39], v[36:37], v[30:31]
	v_add_f64 v[40:41], v[26:27], v[32:33]
	;; [unrolled: 1-line block ×3, first 2 shown]
	v_add_f64 v[28:29], v[28:29], -v[76:77]
	v_add_f64 v[34:35], v[34:35], -v[60:61]
	s_mov_b32 s4, 0x134454ff
	s_mov_b32 s5, 0xbfee6f0e
	;; [unrolled: 1-line block ×4, first 2 shown]
	v_add_f64 v[44:45], v[32:33], -v[30:31]
	v_add_f64 v[46:47], v[30:31], -v[32:33]
	v_fma_f64 v[38:39], v[38:39], -0.5, v[20:21]
	v_fma_f64 v[20:21], v[40:41], -0.5, v[20:21]
	v_add_f64 v[40:41], v[26:27], -v[36:37]
	v_add_f64 v[26:27], v[36:37], -v[26:27]
	v_add_f64 v[36:37], v[42:43], v[36:37]
	v_fma_f64 v[42:43], v[28:29], s[4:5], v[38:39]
	v_fma_f64 v[48:49], v[34:35], s[6:7], v[20:21]
	;; [unrolled: 1-line block ×4, first 2 shown]
	s_mov_b32 s4, 0x4755a5e
	s_mov_b32 s5, 0xbfe2cf23
	;; [unrolled: 1-line block ×4, first 2 shown]
	v_add_f64 v[40:41], v[40:41], v[44:45]
	v_add_f64 v[30:31], v[36:37], v[30:31]
	;; [unrolled: 1-line block ×3, first 2 shown]
	v_fma_f64 v[36:37], v[34:35], s[4:5], v[42:43]
	v_fma_f64 v[42:43], v[28:29], s[4:5], v[48:49]
	;; [unrolled: 1-line block ×4, first 2 shown]
	s_mov_b32 s4, 0x372fe950
	s_mov_b32 s5, 0x3fd3c6ef
	v_add_f64 v[30:31], v[30:31], v[32:33]
	v_fma_f64 v[32:33], v[40:41], s[4:5], v[36:37]
	v_fma_f64 v[34:35], v[26:27], s[4:5], v[42:43]
	;; [unrolled: 1-line block ×4, first 2 shown]
	v_add_nc_u32_e32 v28, 0x2000, v78
	ds_write2_b64 v28, v[30:31], v[32:33] offset0:176 offset1:192
	ds_write2_b64 v28, v[34:35], v[20:21] offset0:208 offset1:224
	ds_write_b64 v78, v[26:27] offset:10112
.LBB0_21:
	s_or_b32 exec_lo, exec_lo, s1
	s_waitcnt lgkmcnt(0)
	s_barrier
	buffer_gl0_inv
	s_and_saveexec_b32 s0, vcc_lo
	s_cbranch_execz .LBB0_23
; %bb.22:
	v_mul_u32_u24_e32 v20, 15, v99
	v_add_nc_u32_e32 v99, 0x1400, v100
	v_add_co_u32 v151, vcc_lo, s12, v74
	v_add_co_ci_u32_e32 v152, vcc_lo, s13, v75, vcc_lo
	v_lshlrev_b32_e32 v20, 4, v20
	v_mad_u64_u32 v[113:114], null, s2, v98, 0
	v_add_nc_u32_e32 v137, 0x50, v98
	s_clause 0xe
	global_load_dwordx4 v[54:57], v20, s[8:9] offset:1168
	global_load_dwordx4 v[50:53], v20, s[8:9] offset:1152
	global_load_dwordx4 v[46:49], v20, s[8:9] offset:1040
	global_load_dwordx4 v[42:45], v20, s[8:9] offset:1056
	global_load_dwordx4 v[58:61], v20, s[8:9] offset:1248
	global_load_dwordx4 v[38:41], v20, s[8:9] offset:1024
	global_load_dwordx4 v[34:37], v20, s[8:9] offset:1104
	global_load_dwordx4 v[30:33], v20, s[8:9] offset:1232
	global_load_dwordx4 v[26:29], v20, s[8:9] offset:1184
	global_load_dwordx4 v[70:73], v20, s[8:9] offset:1200
	global_load_dwordx4 v[76:79], v20, s[8:9] offset:1120
	global_load_dwordx4 v[80:83], v20, s[8:9] offset:1088
	global_load_dwordx4 v[84:87], v20, s[8:9] offset:1136
	global_load_dwordx4 v[88:91], v20, s[8:9] offset:1072
	global_load_dwordx4 v[92:95], v20, s[8:9] offset:1216
	ds_read_b64 v[20:21], v103
	ds_read_b64 v[96:97], v100 offset:9600
	ds_read2_b64 v[103:106], v99 offset0:80 offset1:160
	ds_read_b64 v[111:112], v102
	ds_read_b64 v[101:102], v101
	v_add_nc_u32_e32 v138, 0xa0, v98
	v_add_nc_u32_e32 v139, 0xf0, v98
	;; [unrolled: 1-line block ×3, first 2 shown]
	v_mad_u64_u32 v[117:118], null, s2, v137, 0
	v_mad_u64_u32 v[119:120], null, s2, v138, 0
	v_add_nc_u32_e32 v141, 0x190, v98
	v_add_nc_u32_e32 v142, 0x1e0, v98
	v_or_b32_e32 v145, 0x280, v98
	v_add_nc_u32_e32 v147, 0x2d0, v98
	v_mad_u64_u32 v[121:122], null, s2, v139, 0
	v_add_nc_u32_e32 v148, 0x320, v98
	v_mad_u64_u32 v[123:124], null, s2, v140, 0
	v_add_nc_u32_e32 v149, 0x370, v98
	v_add_nc_u32_e32 v144, 0x230, v98
	;; [unrolled: 1-line block ×4, first 2 shown]
	v_mad_u64_u32 v[127:128], null, s2, v141, 0
	v_mad_u64_u32 v[129:130], null, s2, v142, 0
	;; [unrolled: 1-line block ×3, first 2 shown]
	v_add_nc_u32_e32 v155, 0x460, v98
	v_add_nc_u32_e32 v156, 0x4b0, v98
	v_mad_u64_u32 v[133:134], null, s2, v153, 0
	v_mad_u64_u32 v[135:136], null, s2, v154, 0
	v_add_nc_u32_e32 v107, 0x800, v100
	v_add_nc_u32_e32 v143, 0x2000, v100
	v_add_nc_u32_e32 v146, 0x1800, v100
	v_add_nc_u32_e32 v150, 0x1000, v100
	s_mov_b32 s1, 0xbfe6a09e
	ds_read2_b64 v[107:110], v107 offset0:144 offset1:224
	s_mov_b32 s10, 0xcf328d46
	s_mov_b32 s6, 0xa6aea964
	;; [unrolled: 1-line block ×8, first 2 shown]
	s_waitcnt vmcnt(14) lgkmcnt(3)
	v_mul_f64 v[74:75], v[105:106], v[56:57]
	v_mul_f64 v[56:57], v[24:25], v[56:57]
	s_waitcnt vmcnt(13)
	v_mul_f64 v[115:116], v[103:104], v[52:53]
	v_mul_f64 v[52:53], v[22:23], v[52:53]
	s_waitcnt vmcnt(12) lgkmcnt(2)
	v_mul_f64 v[125:126], v[111:112], v[48:49]
	v_mul_f64 v[48:49], v[66:67], v[48:49]
	v_fma_f64 v[24:25], v[24:25], v[54:55], -v[74:75]
	v_fma_f64 v[54:55], v[54:55], v[105:106], v[56:57]
	v_fma_f64 v[105:106], v[22:23], v[50:51], -v[115:116]
	s_waitcnt vmcnt(11)
	v_mul_f64 v[22:23], v[68:69], v[44:45]
	v_mul_f64 v[56:57], v[20:21], v[44:45]
	v_fma_f64 v[103:104], v[50:51], v[103:104], v[52:53]
	s_waitcnt vmcnt(10)
	v_mul_f64 v[44:45], v[64:65], v[60:61]
	v_mul_f64 v[50:51], v[96:97], v[60:61]
	v_fma_f64 v[66:67], v[66:67], v[46:47], -v[125:126]
	v_fma_f64 v[111:112], v[46:47], v[111:112], v[48:49]
	v_mov_b32_e32 v46, v114
	v_mad_u64_u32 v[115:116], null, s2, v145, 0
	v_mad_u64_u32 v[60:61], null, s2, v148, 0
	;; [unrolled: 1-line block ×5, first 2 shown]
	v_mov_b32_e32 v114, v46
	v_fma_f64 v[98:99], v[42:43], v[20:21], v[22:23]
	v_mov_b32_e32 v20, v118
	v_mov_b32_e32 v21, v120
	v_mov_b32_e32 v22, v122
	v_mov_b32_e32 v23, v124
	v_fma_f64 v[56:57], v[68:69], v[42:43], -v[56:57]
	v_mov_b32_e32 v42, v128
	v_mad_u64_u32 v[47:48], null, s3, v137, v[20:21]
	v_mov_b32_e32 v43, v130
	v_mov_b32_e32 v20, v116
	v_mad_u64_u32 v[48:49], null, s3, v138, v[21:22]
	v_mov_b32_e32 v21, v132
	v_fma_f64 v[96:97], v[96:97], v[58:59], v[44:45]
	v_fma_f64 v[58:59], v[64:65], v[58:59], -v[50:51]
	v_mad_u64_u32 v[49:50], null, s3, v139, v[22:23]
	v_mov_b32_e32 v22, v61
	v_mad_u64_u32 v[50:51], null, s3, v140, v[23:24]
	v_mov_b32_e32 v23, v126
	v_mov_b32_e32 v44, v75
	v_mad_u64_u32 v[51:52], null, s3, v141, v[42:43]
	v_mad_u64_u32 v[137:138], null, s3, v145, v[20:21]
	v_mov_b32_e32 v20, v134
	v_mov_b32_e32 v42, v136
	v_mad_u64_u32 v[138:139], null, s3, v147, v[21:22]
	v_mad_u64_u32 v[139:140], null, s3, v148, v[22:23]
	;; [unrolled: 1-line block ×6, first 2 shown]
	ds_read2_b64 v[20:23], v143 offset0:16 offset1:96
	v_mad_u64_u32 v[144:145], null, s3, v154, v[42:43]
	ds_read2_b64 v[42:45], v146 offset0:112 offset1:192
	v_mad_u64_u32 v[68:69], null, s2, v155, 0
	v_mad_u64_u32 v[142:143], null, s2, v156, 0
	v_mov_b32_e32 v124, v50
	v_mov_b32_e32 v75, v64
	;; [unrolled: 1-line block ×7, first 2 shown]
	s_waitcnt vmcnt(8)
	v_mul_f64 v[64:65], v[10:11], v[36:37]
	s_waitcnt lgkmcnt(2)
	v_mul_f64 v[36:37], v[109:110], v[36:37]
	v_mad_u64_u32 v[145:146], null, s3, v155, v[46:47]
	v_mul_f64 v[146:147], v[101:102], v[40:41]
	v_mul_f64 v[40:41], v[62:63], v[40:41]
	v_mov_b32_e32 v126, v140
	s_waitcnt vmcnt(7)
	v_mul_f64 v[137:138], v[14:15], v[32:33]
	s_waitcnt lgkmcnt(1)
	v_mul_f64 v[32:33], v[22:23], v[32:33]
	v_mov_b32_e32 v136, v144
	s_waitcnt vmcnt(6) lgkmcnt(0)
	v_mul_f64 v[139:140], v[42:43], v[28:29]
	v_mul_f64 v[28:29], v[16:17], v[28:29]
	s_waitcnt vmcnt(5)
	v_mul_f64 v[143:144], v[44:45], v[72:73]
	v_mov_b32_e32 v118, v47
	v_mov_b32_e32 v120, v48
	v_mov_b32_e32 v122, v49
	v_mov_b32_e32 v128, v51
	v_mov_b32_e32 v130, v52
	ds_read2st64_b64 v[46:49], v100 offset1:5
	v_mad_u64_u32 v[148:149], null, s3, v156, v[50:51]
	ds_read2_b64 v[50:53], v150 offset0:48 offset1:128
	v_fma_f64 v[64:65], v[109:110], v[34:35], v[64:65]
	v_fma_f64 v[10:11], v[10:11], v[34:35], -v[36:37]
	s_waitcnt vmcnt(2)
	v_mul_f64 v[34:35], v[6:7], v[86:87]
	v_add_f64 v[24:25], v[66:67], -v[24:25]
	v_fma_f64 v[62:63], v[62:63], v[38:39], -v[146:147]
	v_fma_f64 v[38:39], v[38:39], v[101:102], v[40:41]
	v_mul_f64 v[40:41], v[4:5], v[78:79]
	v_mul_f64 v[100:101], v[8:9], v[82:83]
	v_fma_f64 v[22:23], v[22:23], v[30:31], v[137:138]
	v_fma_f64 v[14:15], v[14:15], v[30:31], -v[32:33]
	s_waitcnt vmcnt(0)
	v_mul_f64 v[30:31], v[12:13], v[94:95]
	v_mul_f64 v[32:33], v[107:108], v[82:83]
	v_fma_f64 v[16:17], v[16:17], v[26:27], -v[139:140]
	v_fma_f64 v[26:27], v[26:27], v[42:43], v[28:29]
	v_mul_f64 v[28:29], v[20:21], v[94:95]
	v_fma_f64 v[82:83], v[18:19], v[70:71], -v[143:144]
	s_waitcnt lgkmcnt(1)
	v_mul_f64 v[36:37], v[48:49], v[90:91]
	v_mul_f64 v[18:19], v[18:19], v[72:73]
	v_mul_f64 v[72:73], v[2:3], v[90:91]
	s_waitcnt lgkmcnt(0)
	v_mul_f64 v[78:79], v[50:51], v[78:79]
	v_mul_f64 v[42:43], v[52:53], v[86:87]
	v_add_f64 v[54:55], v[111:112], -v[54:55]
	s_mov_b32 s2, 0x667f3bcd
	s_mov_b32 s3, 0x3fe6a09e
	v_fma_f64 v[34:35], v[52:53], v[84:85], v[34:35]
	s_mov_b32 s0, s2
	v_lshlrev_b64 v[74:75], 4, v[74:75]
	v_lshlrev_b64 v[60:61], 4, v[60:61]
	v_fma_f64 v[40:41], v[50:51], v[76:77], v[40:41]
	v_fma_f64 v[50:51], v[107:108], v[80:81], v[100:101]
	v_add_f64 v[22:23], v[64:65], -v[22:23]
	v_add_f64 v[14:15], v[10:11], -v[14:15]
	v_fma_f64 v[20:21], v[20:21], v[92:93], v[30:31]
	v_fma_f64 v[8:9], v[8:9], v[80:81], -v[32:33]
	v_add_f64 v[16:17], v[56:57], -v[16:17]
	v_add_f64 v[26:27], v[98:99], -v[26:27]
	v_fma_f64 v[12:13], v[12:13], v[92:93], -v[28:29]
	v_lshlrev_b64 v[30:31], 4, v[117:118]
	v_fma_f64 v[2:3], v[2:3], v[88:89], -v[36:37]
	v_fma_f64 v[18:19], v[70:71], v[44:45], v[18:19]
	v_fma_f64 v[28:29], v[88:89], v[48:49], v[72:73]
	v_fma_f64 v[4:5], v[4:5], v[76:77], -v[78:79]
	v_fma_f64 v[6:7], v[6:7], v[84:85], -v[42:43]
	v_add_f64 v[72:73], v[62:63], -v[105:106]
	v_add_f64 v[76:77], v[38:39], -v[103:104]
	v_lshlrev_b64 v[36:37], 4, v[113:114]
	v_add_f64 v[34:35], v[46:47], -v[34:35]
	v_lshlrev_b64 v[32:33], 4, v[119:120]
	v_lshlrev_b64 v[42:43], 4, v[121:122]
	;; [unrolled: 1-line block ×3, first 2 shown]
	v_add_f64 v[70:71], v[40:41], -v[96:97]
	v_add_co_u32 v92, vcc_lo, v151, v36
	v_add_co_ci_u32_e32 v93, vcc_lo, v152, v37, vcc_lo
	v_add_f64 v[20:21], v[50:51], -v[20:21]
	v_add_f64 v[36:37], v[24:25], -v[22:23]
	v_add_f64 v[96:97], v[54:55], v[14:15]
	v_add_f64 v[12:13], v[8:9], -v[12:13]
	v_fma_f64 v[10:11], v[10:11], 2.0, -v[14:15]
	v_add_f64 v[52:53], v[2:3], -v[82:83]
	v_fma_f64 v[56:57], v[56:57], 2.0, -v[16:17]
	v_add_f64 v[18:19], v[28:29], -v[18:19]
	v_add_f64 v[58:59], v[4:5], -v[58:59]
	;; [unrolled: 1-line block ×3, first 2 shown]
	v_fma_f64 v[14:15], v[62:63], 2.0, -v[72:73]
	v_fma_f64 v[38:39], v[38:39], 2.0, -v[76:77]
	;; [unrolled: 1-line block ×5, first 2 shown]
	v_add_co_u32 v64, vcc_lo, v151, v30
	v_add_f64 v[100:101], v[16:17], -v[70:71]
	v_fma_f64 v[40:41], v[40:41], 2.0, -v[70:71]
	v_add_co_ci_u32_e32 v65, vcc_lo, v152, v31, vcc_lo
	v_lshlrev_b64 v[48:49], 4, v[127:128]
	v_add_f64 v[102:103], v[72:73], -v[20:21]
	v_fma_f64 v[20:21], v[50:51], 2.0, -v[20:21]
	v_fma_f64 v[50:51], v[54:55], 2.0, -v[96:97]
	v_add_f64 v[106:107], v[76:77], v[12:13]
	v_fma_f64 v[8:9], v[8:9], 2.0, -v[12:13]
	v_add_f64 v[94:95], v[34:35], v[52:53]
	v_fma_f64 v[12:13], v[98:99], 2.0, -v[26:27]
	v_fma_f64 v[2:3], v[2:3], 2.0, -v[52:53]
	v_add_f64 v[104:105], v[26:27], v[58:59]
	v_add_f64 v[108:109], v[6:7], -v[18:19]
	v_fma_f64 v[18:19], v[28:29], 2.0, -v[18:19]
	v_fma_f64 v[28:29], v[66:67], 2.0, -v[24:25]
	;; [unrolled: 1-line block ×5, first 2 shown]
	v_add_f64 v[22:23], v[62:63], -v[22:23]
	v_lshlrev_b64 v[80:81], 4, v[115:116]
	v_fma_f64 v[16:17], v[16:17], 2.0, -v[100:101]
	v_lshlrev_b64 v[78:79], 4, v[129:130]
	v_lshlrev_b64 v[82:83], 4, v[131:132]
	v_mov_b32_e32 v134, v141
	v_lshlrev_b64 v[84:85], 4, v[125:126]
	v_fma_f64 v[52:53], v[72:73], 2.0, -v[102:103]
	v_add_co_u32 v72, vcc_lo, v151, v32
	v_fma_f64 v[54:55], v[76:77], 2.0, -v[106:107]
	v_fma_f64 v[58:59], v[100:101], s[2:3], v[102:103]
	v_fma_f64 v[34:35], v[34:35], 2.0, -v[94:95]
	v_fma_f64 v[30:31], v[96:97], s[2:3], v[94:95]
	v_add_f64 v[8:9], v[14:15], -v[8:9]
	v_fma_f64 v[26:27], v[26:27], 2.0, -v[104:105]
	v_fma_f64 v[6:7], v[6:7], 2.0, -v[108:109]
	v_fma_f64 v[66:67], v[104:105], s[2:3], v[106:107]
	v_add_f64 v[18:19], v[46:47], -v[18:19]
	v_add_f64 v[4:5], v[56:57], -v[4:5]
	;; [unrolled: 1-line block ×6, first 2 shown]
	v_fma_f64 v[70:71], v[36:37], s[2:3], v[108:109]
	v_add_co_ci_u32_e32 v73, vcc_lo, v152, v33, vcc_lo
	v_add_co_u32 v112, vcc_lo, v151, v42
	v_fma_f64 v[76:77], v[16:17], s[0:1], v[52:53]
	v_add_co_ci_u32_e32 v113, vcc_lo, v152, v43, vcc_lo
	v_lshlrev_b64 v[86:87], 4, v[133:134]
	v_mov_b32_e32 v69, v145
	v_fma_f64 v[32:33], v[50:51], s[0:1], v[34:35]
	v_fma_f64 v[36:37], v[36:37], s[2:3], v[30:31]
	;; [unrolled: 1-line block ×5, first 2 shown]
	v_fma_f64 v[14:15], v[14:15], 2.0, -v[8:9]
	v_fma_f64 v[42:43], v[46:47], 2.0, -v[18:19]
	;; [unrolled: 1-line block ×8, first 2 shown]
	v_fma_f64 v[58:59], v[100:101], s[2:3], v[66:67]
	v_fma_f64 v[62:63], v[96:97], s[0:1], v[70:71]
	v_add_f64 v[66:67], v[10:11], v[18:19]
	v_add_f64 v[10:11], v[8:9], -v[40:41]
	v_add_f64 v[4:5], v[4:5], v[20:21]
	v_add_f64 v[40:41], v[2:3], -v[22:23]
	v_fma_f64 v[22:23], v[26:27], s[0:1], v[76:77]
	v_add_co_u32 v96, vcc_lo, v151, v44
	v_fma_f64 v[70:71], v[24:25], s[2:3], v[32:33]
	v_add_co_ci_u32_e32 v97, vcc_lo, v152, v45, vcc_lo
	v_fma_f64 v[16:17], v[16:17], s[2:3], v[98:99]
	v_fma_f64 v[76:77], v[50:51], s[0:1], v[110:111]
	v_add_co_u32 v98, vcc_lo, v151, v48
	v_add_co_ci_u32_e32 v99, vcc_lo, v152, v49, vcc_lo
	v_add_f64 v[44:45], v[42:43], -v[46:47]
	v_add_f64 v[24:25], v[14:15], -v[56:57]
	;; [unrolled: 1-line block ×4, first 2 shown]
	v_fma_f64 v[48:49], v[94:95], 2.0, -v[36:37]
	v_fma_f64 v[32:33], v[106:107], 2.0, -v[58:59]
	;; [unrolled: 1-line block ×8, first 2 shown]
	v_fma_f64 v[8:9], v[4:5], s[2:3], v[66:67]
	v_fma_f64 v[56:57], v[34:35], 2.0, -v[70:71]
	v_fma_f64 v[34:35], v[52:53], 2.0, -v[22:23]
	v_fma_f64 v[18:19], v[10:11], s[2:3], v[40:41]
	v_fma_f64 v[52:53], v[54:55], 2.0, -v[16:17]
	v_fma_f64 v[102:103], v[6:7], 2.0, -v[76:77]
	v_fma_f64 v[6:7], v[30:31], s[10:11], v[62:63]
	v_fma_f64 v[2:3], v[58:59], s[10:11], v[36:37]
	;; [unrolled: 1-line block ×4, first 2 shown]
	v_fma_f64 v[116:117], v[42:43], 2.0, -v[44:45]
	v_fma_f64 v[42:43], v[14:15], 2.0, -v[24:25]
	;; [unrolled: 1-line block ×4, first 2 shown]
	v_add_co_u32 v78, vcc_lo, v151, v78
	v_fma_f64 v[106:107], v[32:33], s[8:9], v[48:49]
	v_add_co_ci_u32_e32 v79, vcc_lo, v152, v79, vcc_lo
	v_fma_f64 v[110:111], v[20:21], s[0:1], v[50:51]
	v_fma_f64 v[114:115], v[28:29], s[0:1], v[100:101]
	;; [unrolled: 1-line block ×3, first 2 shown]
	v_add_co_u32 v74, vcc_lo, v151, v74
	v_add_co_ci_u32_e32 v75, vcc_lo, v152, v75, vcc_lo
	v_fma_f64 v[120:121], v[52:53], s[4:5], v[56:57]
	v_fma_f64 v[122:123], v[34:35], s[4:5], v[102:103]
	;; [unrolled: 1-line block ×5, first 2 shown]
	v_add_f64 v[10:11], v[44:45], v[24:25]
	v_fma_f64 v[2:3], v[30:31], s[6:7], v[2:3]
	v_fma_f64 v[14:15], v[22:23], s[10:11], v[54:55]
	v_add_f64 v[24:25], v[118:119], -v[42:43]
	v_add_f64 v[8:9], v[46:47], -v[12:13]
	v_fma_f64 v[12:13], v[16:17], s[4:5], v[104:105]
	v_add_co_u32 v80, vcc_lo, v151, v80
	v_fma_f64 v[18:19], v[26:27], s[10:11], v[106:107]
	v_add_f64 v[26:27], v[116:117], -v[38:39]
	v_fma_f64 v[22:23], v[28:29], s[2:3], v[110:111]
	v_fma_f64 v[20:21], v[20:21], s[0:1], v[114:115]
	v_fma_f64 v[16:17], v[32:33], s[4:5], v[108:109]
	v_add_co_ci_u32_e32 v81, vcc_lo, v152, v81, vcc_lo
	v_add_co_u32 v82, vcc_lo, v151, v82
	v_fma_f64 v[30:31], v[34:35], s[6:7], v[120:121]
	v_fma_f64 v[28:29], v[52:53], s[8:9], v[122:123]
	v_add_co_ci_u32_e32 v83, vcc_lo, v152, v83, vcc_lo
	v_add_co_u32 v104, vcc_lo, v151, v60
	v_fma_f64 v[34:35], v[36:37], 2.0, -v[2:3]
	v_fma_f64 v[36:37], v[40:41], 2.0, -v[4:5]
	;; [unrolled: 1-line block ×5, first 2 shown]
	v_add_co_ci_u32_e32 v105, vcc_lo, v152, v61, vcc_lo
	v_fma_f64 v[46:47], v[48:49], 2.0, -v[18:19]
	v_fma_f64 v[54:55], v[116:117], 2.0, -v[26:27]
	;; [unrolled: 1-line block ×11, first 2 shown]
	v_lshlrev_b64 v[88:89], 4, v[135:136]
	v_add_co_u32 v84, vcc_lo, v151, v84
	v_mov_b32_e32 v143, v148
	v_add_co_ci_u32_e32 v85, vcc_lo, v152, v85, vcc_lo
	v_lshlrev_b64 v[68:69], 4, v[68:69]
	v_add_co_u32 v66, vcc_lo, v151, v86
	v_add_co_ci_u32_e32 v67, vcc_lo, v152, v87, vcc_lo
	v_lshlrev_b64 v[90:91], 4, v[142:143]
	v_add_co_u32 v70, vcc_lo, v151, v88
	v_add_co_ci_u32_e32 v71, vcc_lo, v152, v89, vcc_lo
	v_add_co_u32 v68, vcc_lo, v151, v68
	v_add_co_ci_u32_e32 v69, vcc_lo, v152, v69, vcc_lo
	;; [unrolled: 2-line block ×3, first 2 shown]
	global_store_dwordx4 v[92:93], v[52:55], off
	global_store_dwordx4 v[64:65], v[56:59], off
	;; [unrolled: 1-line block ×16, first 2 shown]
.LBB0_23:
	s_endpgm
	.section	.rodata,"a",@progbits
	.p2align	6, 0x0
	.amdhsa_kernel fft_rtc_fwd_len1280_factors_16_5_16_wgs_80_tpt_80_halfLds_dp_ip_CI_sbrr_dirReg
		.amdhsa_group_segment_fixed_size 0
		.amdhsa_private_segment_fixed_size 0
		.amdhsa_kernarg_size 88
		.amdhsa_user_sgpr_count 6
		.amdhsa_user_sgpr_private_segment_buffer 1
		.amdhsa_user_sgpr_dispatch_ptr 0
		.amdhsa_user_sgpr_queue_ptr 0
		.amdhsa_user_sgpr_kernarg_segment_ptr 1
		.amdhsa_user_sgpr_dispatch_id 0
		.amdhsa_user_sgpr_flat_scratch_init 0
		.amdhsa_user_sgpr_private_segment_size 0
		.amdhsa_wavefront_size32 1
		.amdhsa_uses_dynamic_stack 0
		.amdhsa_system_sgpr_private_segment_wavefront_offset 0
		.amdhsa_system_sgpr_workgroup_id_x 1
		.amdhsa_system_sgpr_workgroup_id_y 0
		.amdhsa_system_sgpr_workgroup_id_z 0
		.amdhsa_system_sgpr_workgroup_info 0
		.amdhsa_system_vgpr_workitem_id 0
		.amdhsa_next_free_vgpr 158
		.amdhsa_next_free_sgpr 23
		.amdhsa_reserve_vcc 1
		.amdhsa_reserve_flat_scratch 0
		.amdhsa_float_round_mode_32 0
		.amdhsa_float_round_mode_16_64 0
		.amdhsa_float_denorm_mode_32 3
		.amdhsa_float_denorm_mode_16_64 3
		.amdhsa_dx10_clamp 1
		.amdhsa_ieee_mode 1
		.amdhsa_fp16_overflow 0
		.amdhsa_workgroup_processor_mode 1
		.amdhsa_memory_ordered 1
		.amdhsa_forward_progress 0
		.amdhsa_shared_vgpr_count 0
		.amdhsa_exception_fp_ieee_invalid_op 0
		.amdhsa_exception_fp_denorm_src 0
		.amdhsa_exception_fp_ieee_div_zero 0
		.amdhsa_exception_fp_ieee_overflow 0
		.amdhsa_exception_fp_ieee_underflow 0
		.amdhsa_exception_fp_ieee_inexact 0
		.amdhsa_exception_int_div_zero 0
	.end_amdhsa_kernel
	.text
.Lfunc_end0:
	.size	fft_rtc_fwd_len1280_factors_16_5_16_wgs_80_tpt_80_halfLds_dp_ip_CI_sbrr_dirReg, .Lfunc_end0-fft_rtc_fwd_len1280_factors_16_5_16_wgs_80_tpt_80_halfLds_dp_ip_CI_sbrr_dirReg
                                        ; -- End function
	.section	.AMDGPU.csdata,"",@progbits
; Kernel info:
; codeLenInByte = 10232
; NumSgprs: 25
; NumVgprs: 158
; ScratchSize: 0
; MemoryBound: 1
; FloatMode: 240
; IeeeMode: 1
; LDSByteSize: 0 bytes/workgroup (compile time only)
; SGPRBlocks: 3
; VGPRBlocks: 19
; NumSGPRsForWavesPerEU: 25
; NumVGPRsForWavesPerEU: 158
; Occupancy: 6
; WaveLimiterHint : 1
; COMPUTE_PGM_RSRC2:SCRATCH_EN: 0
; COMPUTE_PGM_RSRC2:USER_SGPR: 6
; COMPUTE_PGM_RSRC2:TRAP_HANDLER: 0
; COMPUTE_PGM_RSRC2:TGID_X_EN: 1
; COMPUTE_PGM_RSRC2:TGID_Y_EN: 0
; COMPUTE_PGM_RSRC2:TGID_Z_EN: 0
; COMPUTE_PGM_RSRC2:TIDIG_COMP_CNT: 0
	.text
	.p2alignl 6, 3214868480
	.fill 48, 4, 3214868480
	.type	__hip_cuid_1e9e4267787f44a1,@object ; @__hip_cuid_1e9e4267787f44a1
	.section	.bss,"aw",@nobits
	.globl	__hip_cuid_1e9e4267787f44a1
__hip_cuid_1e9e4267787f44a1:
	.byte	0                               ; 0x0
	.size	__hip_cuid_1e9e4267787f44a1, 1

	.ident	"AMD clang version 19.0.0git (https://github.com/RadeonOpenCompute/llvm-project roc-6.4.0 25133 c7fe45cf4b819c5991fe208aaa96edf142730f1d)"
	.section	".note.GNU-stack","",@progbits
	.addrsig
	.addrsig_sym __hip_cuid_1e9e4267787f44a1
	.amdgpu_metadata
---
amdhsa.kernels:
  - .args:
      - .actual_access:  read_only
        .address_space:  global
        .offset:         0
        .size:           8
        .value_kind:     global_buffer
      - .offset:         8
        .size:           8
        .value_kind:     by_value
      - .actual_access:  read_only
        .address_space:  global
        .offset:         16
        .size:           8
        .value_kind:     global_buffer
      - .actual_access:  read_only
        .address_space:  global
        .offset:         24
        .size:           8
        .value_kind:     global_buffer
      - .offset:         32
        .size:           8
        .value_kind:     by_value
      - .actual_access:  read_only
        .address_space:  global
        .offset:         40
        .size:           8
        .value_kind:     global_buffer
      - .actual_access:  read_only
        .address_space:  global
        .offset:         48
        .size:           8
        .value_kind:     global_buffer
      - .offset:         56
        .size:           4
        .value_kind:     by_value
      - .actual_access:  read_only
        .address_space:  global
        .offset:         64
        .size:           8
        .value_kind:     global_buffer
      - .actual_access:  read_only
        .address_space:  global
        .offset:         72
        .size:           8
        .value_kind:     global_buffer
      - .address_space:  global
        .offset:         80
        .size:           8
        .value_kind:     global_buffer
    .group_segment_fixed_size: 0
    .kernarg_segment_align: 8
    .kernarg_segment_size: 88
    .language:       OpenCL C
    .language_version:
      - 2
      - 0
    .max_flat_workgroup_size: 80
    .name:           fft_rtc_fwd_len1280_factors_16_5_16_wgs_80_tpt_80_halfLds_dp_ip_CI_sbrr_dirReg
    .private_segment_fixed_size: 0
    .sgpr_count:     25
    .sgpr_spill_count: 0
    .symbol:         fft_rtc_fwd_len1280_factors_16_5_16_wgs_80_tpt_80_halfLds_dp_ip_CI_sbrr_dirReg.kd
    .uniform_work_group_size: 1
    .uses_dynamic_stack: false
    .vgpr_count:     158
    .vgpr_spill_count: 0
    .wavefront_size: 32
    .workgroup_processor_mode: 1
amdhsa.target:   amdgcn-amd-amdhsa--gfx1030
amdhsa.version:
  - 1
  - 2
...

	.end_amdgpu_metadata
